;; amdgpu-corpus repo=ROCm/bitsandbytes kind=harvested arch=n/a opt=n/a
	.text
	.amdgcn_target "amdgcn-amd-amdhsa--gfx90a"
	.amdhsa_code_object_version 6
	.protected	_Z18kQuantizeBlockwiseI6__halfLi4096ELi4ELi1ELi0EEvPfPT_S1_PhS1_ii ; -- Begin function _Z18kQuantizeBlockwiseI6__halfLi4096ELi4ELi1ELi0EEvPfPT_S1_PhS1_ii
	.globl	_Z18kQuantizeBlockwiseI6__halfLi4096ELi4ELi1ELi0EEvPfPT_S1_PhS1_ii
	.p2align	8
	.type	_Z18kQuantizeBlockwiseI6__halfLi4096ELi4ELi1ELi0EEvPfPT_S1_PhS1_ii,@function
_Z18kQuantizeBlockwiseI6__halfLi4096ELi4ELi1ELi0EEvPfPT_S1_PhS1_ii: ; @_Z18kQuantizeBlockwiseI6__halfLi4096ELi4ELi1ELi0EEvPfPT_S1_PhS1_ii
; %bb.0:
	s_load_dword s7, s[4:5], 0x30
	s_add_u32 s0, s4, 48
	s_movk_i32 s10, 0x100
	s_addc_u32 s1, s5, 0
	v_cmp_gt_u32_e32 vcc, s10, v0
	s_and_saveexec_b64 s[2:3], vcc
	s_cbranch_execz .LBB97_13
; %bb.1:
	s_load_dword s0, s[0:1], 0xc
	s_waitcnt lgkmcnt(0)
	s_and_b32 s14, s0, 0xffff
	v_cvt_f32_u32_e32 v1, s14
	v_add_u32_e32 v2, s14, v0
	v_mov_b32_e32 v3, s14
	v_cmp_gt_u32_e32 vcc, s10, v2
	v_rcp_iflag_f32_e32 v1, v1
	s_cmp_eq_u32 s14, 1
	v_max_u32_e32 v4, 0x100, v2
	v_addc_co_u32_e64 v2, s[0:1], v0, v3, vcc
	v_mul_f32_e32 v1, 0x4f7ffffe, v1
	v_cvt_u32_f32_e32 v1, v1
	s_cselect_b64 s[12:13], -1, 0
	s_sub_i32 s0, 0, s14
	v_sub_u32_e32 v2, v4, v2
	v_mul_lo_u32 v3, s0, v1
	v_mul_hi_u32 v3, v1, v3
	v_add_u32_e32 v1, v1, v3
	v_mul_hi_u32 v1, v2, v1
	v_mul_lo_u32 v3, v1, s14
	v_sub_u32_e32 v2, v2, v3
	v_add_u32_e32 v4, 1, v1
	v_cmp_le_u32_e64 s[0:1], s14, v2
	v_subrev_u32_e32 v3, s14, v2
	v_cndmask_b32_e64 v1, v1, v4, s[0:1]
	v_cndmask_b32_e64 v2, v2, v3, s[0:1]
	s_load_dwordx2 s[8:9], s[4:5], 0x0
	v_add_u32_e32 v3, 1, v1
	v_cmp_le_u32_e64 s[0:1], s14, v2
	v_cndmask_b32_e64 v3, v1, v3, s[0:1]
	v_addc_co_u32_e64 v1, s[0:1], 1, v3, vcc
	v_cmp_lt_u32_e64 s[0:1], 1, v1
	s_and_b64 s[12:13], s[0:1], s[12:13]
	s_mov_b64 s[10:11], -1
	v_mov_b32_e32 v2, v0
	s_and_saveexec_b64 s[0:1], s[12:13]
	s_cbranch_execz .LBB97_10
; %bb.2:
	v_addc_co_u32_e32 v2, vcc, 0, v3, vcc
	v_add_u32_e32 v2, -1, v2
	v_lshrrev_b32_e32 v3, 1, v2
	v_add_u32_e32 v4, 1, v3
	v_cmp_lt_u32_e32 vcc, 13, v2
	v_mov_b32_e32 v8, 0
	s_and_saveexec_b64 s[10:11], vcc
	s_cbranch_execz .LBB97_6
; %bb.3:
	v_mov_b32_e32 v2, 0x7380
	v_and_b32_e32 v5, -8, v4
	v_lshl_add_u32 v6, v0, 2, v2
	s_mov_b32 s15, 0
	s_mov_b64 s[12:13], 0
	s_waitcnt lgkmcnt(0)
	v_mov_b32_e32 v7, s9
	v_mov_b32_e32 v3, 0
	;; [unrolled: 1-line block ×3, first 2 shown]
.LBB97_4:                               ; =>This Inner Loop Header: Depth=1
	v_lshlrev_b64 v[8:9], 2, v[2:3]
	v_add_u32_e32 v10, 2, v2
	v_mov_b32_e32 v11, v3
	v_add_co_u32_e32 v8, vcc, s8, v8
	v_addc_co_u32_e32 v9, vcc, v7, v9, vcc
	v_lshlrev_b64 v[10:11], 2, v[10:11]
	v_add_u32_e32 v12, 4, v2
	v_mov_b32_e32 v13, v3
	v_add_co_u32_e32 v10, vcc, s8, v10
	v_lshlrev_b64 v[12:13], 2, v[12:13]
	v_addc_co_u32_e32 v11, vcc, v7, v11, vcc
	v_add_u32_e32 v14, 6, v2
	v_mov_b32_e32 v15, v3
	v_add_co_u32_e32 v12, vcc, s8, v12
	v_lshlrev_b64 v[14:15], 2, v[14:15]
	v_addc_co_u32_e32 v13, vcc, v7, v13, vcc
	;; [unrolled: 5-line block ×6, first 2 shown]
	v_add_co_u32_e32 v22, vcc, s8, v22
	v_addc_co_u32_e32 v23, vcc, v7, v23, vcc
	global_load_dwordx2 v[24:25], v[8:9], off
	global_load_dwordx2 v[26:27], v[10:11], off
	;; [unrolled: 1-line block ×8, first 2 shown]
	v_add_u32_e32 v5, -8, v5
	s_add_i32 s15, s15, 16
	v_cmp_eq_u32_e32 vcc, 0, v5
	v_add_u32_e32 v2, 16, v2
	v_mov_b32_e32 v8, s15
	s_or_b64 s[12:13], vcc, s[12:13]
	s_waitcnt vmcnt(7)
	ds_write2_b32 v6, v24, v25 offset1:1
	s_waitcnt vmcnt(6)
	ds_write2_b32 v6, v26, v27 offset0:2 offset1:3
	s_waitcnt vmcnt(5)
	ds_write2_b32 v6, v28, v29 offset0:4 offset1:5
	;; [unrolled: 2-line block ×7, first 2 shown]
	v_add_u32_e32 v6, 64, v6
	s_andn2_b64 exec, exec, s[12:13]
	s_cbranch_execnz .LBB97_4
; %bb.5:
	s_or_b64 exec, exec, s[12:13]
.LBB97_6:
	s_or_b64 exec, exec, s[10:11]
	v_and_b32_e32 v4, 7, v4
	v_cmp_ne_u32_e32 vcc, 0, v4
	s_and_saveexec_b64 s[10:11], vcc
	s_cbranch_execz .LBB97_9
; %bb.7:
	v_add_u32_e32 v2, v0, v8
	v_mov_b32_e32 v3, 0x7380
	v_lshl_add_u32 v5, v2, 2, v3
	s_mov_b64 s[12:13], 0
	v_mov_b32_e32 v3, 0
	s_waitcnt lgkmcnt(0)
	v_mov_b32_e32 v6, s9
.LBB97_8:                               ; =>This Inner Loop Header: Depth=1
	v_lshlrev_b64 v[8:9], 2, v[2:3]
	v_add_co_u32_e32 v8, vcc, s8, v8
	v_addc_co_u32_e32 v9, vcc, v6, v9, vcc
	global_load_dwordx2 v[8:9], v[8:9], off
	v_add_u32_e32 v4, -1, v4
	v_cmp_eq_u32_e32 vcc, 0, v4
	v_add_u32_e32 v2, 2, v2
	s_or_b64 s[12:13], vcc, s[12:13]
	s_waitcnt vmcnt(0)
	ds_write2_b32 v5, v8, v9 offset1:1
	v_add_u32_e32 v5, 8, v5
	s_andn2_b64 exec, exec, s[12:13]
	s_cbranch_execnz .LBB97_8
.LBB97_9:
	s_or_b64 exec, exec, s[10:11]
	v_and_b32_e32 v3, -2, v1
	v_cmp_ne_u32_e32 vcc, v1, v3
	v_add_u32_e32 v2, v0, v3
	s_orn2_b64 s[10:11], vcc, exec
.LBB97_10:
	s_or_b64 exec, exec, s[0:1]
	s_and_b64 exec, exec, s[10:11]
	s_cbranch_execz .LBB97_13
; %bb.11:
	v_mov_b32_e32 v3, 0
	v_lshlrev_b64 v[4:5], 2, v[2:3]
	s_waitcnt lgkmcnt(0)
	v_mov_b32_e32 v1, s9
	v_add_co_u32_e32 v4, vcc, s8, v4
	s_mov_b32 s10, 0
	v_addc_co_u32_e32 v5, vcc, v1, v5, vcc
	v_mov_b32_e32 v1, 0x7380
	s_lshl_b32 s8, s14, 2
	v_lshl_add_u32 v1, v2, 2, v1
	s_mov_b64 s[0:1], 0
	v_mov_b32_e32 v3, s10
	s_movk_i32 s9, 0xff
.LBB97_12:                              ; =>This Inner Loop Header: Depth=1
	global_load_dword v6, v[4:5], off
	v_add_co_u32_e32 v4, vcc, s8, v4
	v_add_u32_e32 v2, s14, v2
	v_addc_co_u32_e32 v5, vcc, v5, v3, vcc
	v_cmp_lt_u32_e32 vcc, s9, v2
	s_or_b64 s[0:1], vcc, s[0:1]
	s_waitcnt vmcnt(0)
	ds_write_b32 v1, v6
	v_add_u32_e32 v1, s8, v1
	s_andn2_b64 exec, exec, s[0:1]
	s_cbranch_execnz .LBB97_12
.LBB97_13:
	s_or_b64 exec, exec, s[2:3]
	s_waitcnt lgkmcnt(0)
	s_lshl_b32 s33, s7, 12
	s_lshl_b32 s34, s6, 12
	s_cmp_ge_i32 s34, s33
	s_cbranch_scc1 .LBB97_86
; %bb.14:
	s_load_dwordx2 s[0:1], s[4:5], 0x8
	s_load_dwordx8 s[36:43], s[4:5], 0x10
	v_mbcnt_lo_u32_b32 v1, -1, 0
	v_mbcnt_hi_u32_b32 v1, -1, v1
	v_lshlrev_b32_e32 v2, 2, v0
	v_lshlrev_b32_e32 v4, 1, v1
	v_and_b32_e32 v3, 0xf00, v2
	s_waitcnt lgkmcnt(0)
	v_mov_b32_e32 v5, s1
	v_add_co_u32_e32 v4, vcc, s0, v4
	v_addc_co_u32_e32 v5, vcc, 0, v5, vcc
	v_lshlrev_b32_e32 v6, 1, v3
	v_or_b32_e32 v14, v1, v3
	v_add_co_u32_e32 v12, vcc, v4, v6
	v_lshrrev_b32_e32 v4, 5, v14
	v_addc_co_u32_e32 v13, vcc, 0, v5, vcc
	v_and_b32_e32 v5, 0x7a, v4
	v_add_u32_e32 v15, 64, v14
	v_add_u32_e32 v5, v5, v14
	v_mov_b32_e32 v6, 0x4200
	v_lshl_add_u32 v18, v5, 1, v6
	v_lshrrev_b32_e32 v5, 5, v15
	v_or_b32_e32 v16, 0x80, v14
	v_and_b32_e32 v7, 0x7e, v5
	v_add_u32_e32 v7, v7, v15
	v_lshrrev_b32_e32 v8, 5, v16
	v_add_u32_e32 v17, 0xc0, v14
	v_lshl_add_u32 v19, v7, 1, v6
	v_and_b32_e32 v7, 0x7e, v8
	v_add_u32_e32 v7, v7, v16
	v_lshrrev_b32_e32 v9, 5, v17
	v_lshl_add_u32 v20, v7, 1, v6
	v_and_b32_e32 v7, 0xfe, v9
	v_add_u32_e32 v7, v7, v17
	v_and_b32_e32 v22, 0x3c0, v0
	v_lshl_add_u32 v21, v7, 1, v6
	v_add_u32_e32 v7, v1, v22
	v_bfe_u32 v11, v7, 3, 27
	v_lshlrev_b32_e32 v10, 2, v7
	v_and_b32_e32 v7, 0xfe, v11
	v_add_u32_e32 v7, v7, v10
	v_lshl_add_u32 v23, v7, 1, v6
	v_and_b32_e32 v6, 63, v1
	v_cmp_ne_u32_e32 vcc, 63, v6
	v_addc_co_u32_e32 v7, vcc, 0, v1, vcc
	v_cmp_gt_u32_e32 vcc, 62, v6
	v_lshlrev_b32_e32 v24, 2, v7
	v_cndmask_b32_e64 v7, 0, 1, vcc
	v_lshlrev_b32_e32 v7, 1, v7
	v_cmp_gt_u32_e32 vcc, 60, v6
	v_add_lshl_u32 v26, v7, v1, 2
	v_cndmask_b32_e64 v7, 0, 1, vcc
	v_lshlrev_b32_e32 v7, 2, v7
	v_cmp_gt_u32_e32 vcc, 56, v6
	v_add_lshl_u32 v28, v7, v1, 2
	;; [unrolled: 4-line block ×3, first 2 shown]
	v_cndmask_b32_e64 v7, 0, 1, vcc
	v_cmp_gt_u32_e32 vcc, 32, v6
	v_cndmask_b32_e64 v6, 0, 1, vcc
	v_lshlrev_b32_e32 v7, 4, v7
	v_lshlrev_b32_e32 v6, 5, v6
	v_add_lshl_u32 v32, v7, v1, 2
	v_add_lshl_u32 v34, v6, v1, 2
	v_lshrrev_b32_e32 v6, 4, v0
	v_mov_b32_e32 v7, 0x7780
	v_cmp_gt_u32_e64 s[2:3], 16, v0
	v_cmp_eq_u32_e64 s[4:5], 0, v0
	v_or_b32_e32 v0, s34, v2
	v_and_or_b32 v36, v6, 60, v7
	v_and_b32_e32 v7, 15, v1
	v_add_u32_e32 v0, s42, v0
	s_mov_b32 s6, 0x80808081
	v_cmp_ne_u32_e32 vcc, 15, v7
	v_mul_hi_u32 v2, v0, s6
	v_addc_co_u32_e32 v39, vcc, 0, v1, vcc
	v_lshrrev_b32_e32 v2, 9, v2
	v_cmp_gt_u32_e32 vcc, 14, v7
	v_mul_u32_u24_e32 v2, 0x3fc, v2
	v_cndmask_b32_e64 v41, 0, 1, vcc
	v_cmp_gt_u32_e32 vcc, 12, v7
	v_sub_u32_e32 v0, v0, v2
	v_cndmask_b32_e64 v43, 0, 1, vcc
	v_cmp_gt_u32_e32 vcc, 8, v7
	v_lshlrev_b32_e32 v0, 2, v0
	v_cndmask_b32_e64 v44, 0, 1, vcc
	v_mov_b32_e32 v2, s41
	v_add_co_u32_e32 v0, vcc, s40, v0
	v_lshlrev_b32_e32 v6, 2, v1
	v_addc_co_u32_e32 v2, vcc, 0, v2, vcc
	v_add_co_u32_e32 v0, vcc, v0, v6
	v_add_u32_e32 v37, 0x7780, v6
	v_addc_co_u32_e32 v2, vcc, 0, v2, vcc
	v_lshlrev_b32_e32 v6, 2, v3
	v_add_co_u32_e32 v6, vcc, v0, v6
	v_add_u32_e32 v38, 1, v7
	v_add_u32_e32 v40, 2, v7
	;; [unrolled: 1-line block ×4, first 2 shown]
	v_addc_co_u32_e32 v7, vcc, 0, v2, vcc
	v_and_b32_e32 v2, 0xfc, v11
	v_add_u32_e32 v50, v2, v10
	v_and_b32_e32 v2, 0x78, v4
	v_add_u32_e32 v51, v2, v14
	;; [unrolled: 2-line block ×3, first 2 shown]
	v_and_b32_e32 v2, 0x7c, v8
	v_lshlrev_b32_e32 v41, 1, v41
	v_lshlrev_b32_e32 v43, 2, v43
	v_lshlrev_b32_e32 v44, 3, v44
	v_add_u32_e32 v53, v2, v16
	v_and_b32_e32 v2, 0xfc, v9
	v_add_u32_e32 v25, 1, v1
	v_add_u32_e32 v27, 2, v1
	v_add_u32_e32 v29, 4, v1
	v_add_u32_e32 v31, 8, v1
	v_add_u32_e32 v33, 16, v1
	v_add_u32_e32 v35, 32, v1
	v_cmp_eq_u32_e64 s[0:1], 0, v1
	v_add_lshl_u32 v41, v41, v1, 2
	v_add_lshl_u32 v43, v43, v1, 2
	;; [unrolled: 1-line block ×3, first 2 shown]
	v_add_u32_e32 v54, v2, v17
	v_mov_b32_e32 v2, s39
	v_add_co_u32_e32 v1, vcc, s38, v1
	v_addc_co_u32_e32 v2, vcc, 0, v2, vcc
	s_movk_i32 s12, 0x1000
	v_add_co_u32_e32 v55, vcc, v1, v3
	v_lshlrev_b32_e32 v39, 2, v39
	v_cmp_gt_u32_e64 s[6:7], s12, v14
	v_cmp_gt_u32_e64 s[8:9], s12, v15
	;; [unrolled: 1-line block ×4, first 2 shown]
	v_add_lshl_u32 v0, v4, v14, 2
	v_add_lshl_u32 v46, v5, v15, 2
	;; [unrolled: 1-line block ×5, first 2 shown]
	v_addc_co_u32_e32 v56, vcc, 0, v2, vcc
	s_sub_i32 s38, s43, s34
	s_mov_b32 s39, 0xff7fffff
	v_mov_b32_e32 v1, 0
	s_movk_i32 s44, 0xff
	s_mov_b32 s40, 0
	s_movk_i32 s45, 0x7200
	v_mov_b32_e32 v57, 0x7f
	v_mov_b32_e32 v58, 0xbf
	v_not_b32_e32 v59, 31
	v_mov_b32_e32 v60, 0xff
	s_branch .LBB97_16
.LBB97_15:                              ;   in Loop: Header=BB97_16 Depth=1
	s_or_b64 exec, exec, s[14:15]
	s_add_i32 s34, s34, s33
	s_sub_i32 s38, s38, s33
	s_cmp_ge_i32 s34, s33
	s_cbranch_scc1 .LBB97_86
.LBB97_16:                              ; =>This Inner Loop Header: Depth=1
	s_ashr_i32 s35, s34, 31
	s_lshl_b64 s[14:15], s[34:35], 1
	s_min_i32 s41, s38, 0x1000
	v_mov_b32_e32 v3, s15
	v_add_co_u32_e32 v2, vcc, s14, v12
	v_addc_co_u32_e32 v3, vcc, v13, v3, vcc
	v_cmp_gt_u32_e64 s[14:15], s41, v14
	s_waitcnt lgkmcnt(0)
	v_mov_b32_e32 v4, 0
	s_barrier
	s_and_saveexec_b64 s[16:17], s[14:15]
	s_cbranch_execz .LBB97_18
; %bb.17:                               ;   in Loop: Header=BB97_16 Depth=1
	global_load_ushort v4, v[2:3], off
.LBB97_18:                              ;   in Loop: Header=BB97_16 Depth=1
	s_or_b64 exec, exec, s[16:17]
	v_cmp_gt_u32_e64 s[16:17], s41, v15
	v_mov_b32_e32 v5, 0
	v_mov_b32_e32 v8, 0
	s_and_saveexec_b64 s[18:19], s[16:17]
	s_cbranch_execz .LBB97_20
; %bb.19:                               ;   in Loop: Header=BB97_16 Depth=1
	global_load_ushort v8, v[2:3], off offset:128
.LBB97_20:                              ;   in Loop: Header=BB97_16 Depth=1
	s_or_b64 exec, exec, s[18:19]
	v_cmp_gt_u32_e64 s[18:19], s41, v16
	s_and_saveexec_b64 s[20:21], s[18:19]
	s_cbranch_execz .LBB97_22
; %bb.21:                               ;   in Loop: Header=BB97_16 Depth=1
	global_load_ushort v5, v[2:3], off offset:256
.LBB97_22:                              ;   in Loop: Header=BB97_16 Depth=1
	s_or_b64 exec, exec, s[20:21]
	v_cmp_gt_u32_e64 s[20:21], s41, v17
	v_mov_b32_e32 v9, 0
	s_and_saveexec_b64 s[22:23], s[20:21]
	s_cbranch_execz .LBB97_24
; %bb.23:                               ;   in Loop: Header=BB97_16 Depth=1
	global_load_ushort v9, v[2:3], off offset:384
.LBB97_24:                              ;   in Loop: Header=BB97_16 Depth=1
	s_or_b64 exec, exec, s[22:23]
	s_waitcnt vmcnt(0)
	ds_write_b16 v18, v4
	ds_write_b16 v19, v8
	;; [unrolled: 1-line block ×4, first 2 shown]
	; wave barrier
	ds_read_b64 v[8:9], v23
	s_waitcnt lgkmcnt(0)
	v_cvt_f32_f16_e64 v2, |v8|
	v_cvt_f32_f16_sdwa v3, |v8| dst_sel:DWORD dst_unused:UNUSED_PAD src0_sel:WORD_1
	v_cvt_f32_f16_e64 v4, |v9|
	v_cvt_f32_f16_sdwa v5, |v9| dst_sel:DWORD dst_unused:UNUSED_PAD src0_sel:WORD_1
	v_max3_f32 v2, v2, s39, v3
	v_max3_f32 v2, v2, v4, v5
	ds_bpermute_b32 v3, v24, v2
	v_sub_u32_e64 v4, s41, v22 clamp
	v_cmp_lt_u32_e64 s[28:29], v35, v4
	s_waitcnt lgkmcnt(0)
	v_cmp_lt_f32_e32 vcc, v2, v3
	v_cndmask_b32_e32 v3, v2, v3, vcc
	v_cmp_lt_u32_e32 vcc, v25, v4
	v_cndmask_b32_e32 v3, v2, v3, vcc
	ds_bpermute_b32 v5, v26, v3
	s_waitcnt lgkmcnt(0)
	v_cmp_lt_f32_e64 s[22:23], v3, v5
	v_cndmask_b32_e64 v5, v3, v5, s[22:23]
	v_cmp_lt_u32_e64 s[22:23], v27, v4
	v_cndmask_b32_e64 v3, v3, v5, s[22:23]
	ds_bpermute_b32 v5, v28, v3
	s_or_b64 s[22:23], vcc, s[22:23]
	s_waitcnt lgkmcnt(0)
	v_cmp_lt_f32_e64 s[24:25], v3, v5
	v_cndmask_b32_e64 v5, v3, v5, s[24:25]
	v_cmp_lt_u32_e64 s[24:25], v29, v4
	v_cndmask_b32_e64 v3, v3, v5, s[24:25]
	ds_bpermute_b32 v5, v30, v3
	s_or_b64 s[22:23], s[24:25], s[22:23]
	s_waitcnt lgkmcnt(0)
	v_cmp_lt_f32_e64 s[26:27], v3, v5
	v_cndmask_b32_e64 v5, v3, v5, s[26:27]
	v_cmp_lt_u32_e64 s[26:27], v31, v4
	v_cndmask_b32_e64 v3, v3, v5, s[26:27]
	ds_bpermute_b32 v5, v32, v3
	s_or_b64 s[22:23], s[26:27], s[22:23]
	;; [unrolled: 7-line block ×3, first 2 shown]
	s_waitcnt lgkmcnt(0)
	v_cmp_lt_f32_e32 vcc, v3, v4
	s_and_b64 vcc, s[28:29], vcc
	v_cndmask_b32_e32 v3, v3, v4, vcc
	s_or_b64 vcc, s[28:29], s[22:23]
	v_cndmask_b32_e32 v2, v2, v3, vcc
	s_and_saveexec_b64 s[22:23], s[0:1]
	s_cbranch_execz .LBB97_26
; %bb.25:                               ;   in Loop: Header=BB97_16 Depth=1
	ds_write_b32 v36, v2
.LBB97_26:                              ;   in Loop: Header=BB97_16 Depth=1
	s_or_b64 exec, exec, s[22:23]
	s_waitcnt lgkmcnt(0)
	s_barrier
	s_and_saveexec_b64 s[26:27], s[2:3]
	s_cbranch_execz .LBB97_28
; %bb.27:                               ;   in Loop: Header=BB97_16 Depth=1
	ds_read_b32 v2, v37
	s_add_i32 s41, s41, 63
	s_lshr_b32 s24, s41, 6
	s_waitcnt lgkmcnt(0)
	ds_bpermute_b32 v3, v39, v2
	s_waitcnt lgkmcnt(0)
	v_cmp_lt_f32_e32 vcc, v2, v3
	v_cndmask_b32_e32 v3, v2, v3, vcc
	v_cmp_gt_u32_e32 vcc, s24, v38
	v_cndmask_b32_e32 v3, v2, v3, vcc
	ds_bpermute_b32 v4, v41, v3
	s_waitcnt lgkmcnt(0)
	v_cmp_lt_f32_e64 s[22:23], v3, v4
	v_cndmask_b32_e64 v4, v3, v4, s[22:23]
	v_cmp_gt_u32_e64 s[22:23], s24, v40
	v_cndmask_b32_e64 v3, v3, v4, s[22:23]
	ds_bpermute_b32 v4, v43, v3
	s_waitcnt lgkmcnt(0)
	v_cmp_lt_f32_e64 s[22:23], v3, v4
	v_cndmask_b32_e64 v4, v3, v4, s[22:23]
	v_cmp_gt_u32_e64 s[22:23], s24, v42
	v_cndmask_b32_e64 v3, v3, v4, s[22:23]
	ds_bpermute_b32 v4, v44, v3
	v_cmp_gt_u32_e64 s[22:23], s24, v45
	s_waitcnt lgkmcnt(0)
	v_cmp_lt_f32_e64 s[24:25], v3, v4
	s_and_b64 s[22:23], s[22:23], s[24:25]
	v_cndmask_b32_e64 v3, v3, v4, s[22:23]
	v_cndmask_b32_e32 v2, v2, v3, vcc
.LBB97_28:                              ;   in Loop: Header=BB97_16 Depth=1
	s_or_b64 exec, exec, s[26:27]
	s_and_saveexec_b64 s[22:23], s[4:5]
	s_cbranch_execz .LBB97_30
; %bb.29:                               ;   in Loop: Header=BB97_16 Depth=1
	v_div_scale_f32 v3, s[24:25], v2, v2, 1.0
	v_rcp_f32_e32 v4, v3
	v_div_scale_f32 v5, vcc, 1.0, v2, 1.0
	s_ashr_i32 s24, s34, 12
	v_fma_f32 v10, -v3, v4, 1.0
	v_fmac_f32_e32 v4, v10, v4
	v_mul_f32_e32 v10, v5, v4
	v_fma_f32 v11, -v3, v10, v5
	v_fmac_f32_e32 v10, v11, v4
	s_ashr_i32 s25, s24, 31
	v_fma_f32 v3, -v3, v10, v5
	s_lshl_b64 s[24:25], s[24:25], 2
	v_div_fmas_f32 v3, v3, v4, v10
	s_add_u32 s24, s36, s24
	v_div_fixup_f32 v3, v3, v2, 1.0
	s_addc_u32 s25, s37, s25
	ds_write_b32 v1, v3 offset:30656
	global_store_dword v1, v2, s[24:25]
.LBB97_30:                              ;   in Loop: Header=BB97_16 Depth=1
	s_or_b64 exec, exec, s[22:23]
	s_waitcnt lgkmcnt(0)
	s_barrier
	ds_read_b32 v65, v1 offset:30656
	s_mov_b32 s41, s40
	s_mov_b32 s42, s40
	;; [unrolled: 1-line block ×3, first 2 shown]
	v_pk_mov_b32 v[2:3], s[40:41], s[40:41] op_sel:[0,1]
	v_pk_mov_b32 v[4:5], s[42:43], s[42:43] op_sel:[0,1]
	v_mov_b32_e32 v10, 0
	s_and_saveexec_b64 s[22:23], s[6:7]
	s_cbranch_execnz .LBB97_79
; %bb.31:                               ;   in Loop: Header=BB97_16 Depth=1
	s_or_b64 exec, exec, s[22:23]
	s_and_saveexec_b64 s[22:23], s[8:9]
	s_cbranch_execnz .LBB97_80
.LBB97_32:                              ;   in Loop: Header=BB97_16 Depth=1
	s_or_b64 exec, exec, s[22:23]
	s_and_saveexec_b64 s[22:23], s[10:11]
	s_cbranch_execnz .LBB97_81
.LBB97_33:                              ;   in Loop: Header=BB97_16 Depth=1
	s_or_b64 exec, exec, s[22:23]
	s_and_saveexec_b64 s[22:23], s[12:13]
	s_cbranch_execz .LBB97_35
.LBB97_34:                              ;   in Loop: Header=BB97_16 Depth=1
	global_load_dword v5, v[6:7], off offset:768
.LBB97_35:                              ;   in Loop: Header=BB97_16 Depth=1
	s_or_b64 exec, exec, s[22:23]
	v_add_u32_e64 v2, s45, 0
	s_waitcnt vmcnt(0)
	ds_write_b32 v0, v10
	ds_write_b32 v46, v3
	ds_write_b32 v47, v4
	ds_write_b32 v48, v5
	; wave barrier
	ds_read2_b32 v[10:11], v2 offset0:96 offset1:223
	v_cvt_f32_f16_e32 v2, v8
	v_mov_b32_e32 v72, -16
	s_waitcnt lgkmcnt(5)
	v_mul_f32_e32 v67, v65, v2
	s_waitcnt lgkmcnt(0)
	v_cmp_lt_f32_e32 vcc, v11, v67
	v_cndmask_b32_e32 v69, 63, v58, vcc
	v_lshlrev_b32_e32 v61, 2, v69
	ds_read_b32 v71, v61 offset:29568
	ds_read2_b32 v[4:5], v49 offset1:1
	ds_read2_b32 v[2:3], v49 offset0:2 offset1:3
	v_add_u32_e32 v61, 0x7380, v61
	v_cndmask_b32_e32 v63, -1.0, v11, vcc
	s_waitcnt lgkmcnt(2)
	v_cmp_lt_f32_e64 s[22:23], v71, v67
	v_cndmask_b32_e64 v70, v59, 32, s[22:23]
	v_lshl_add_u32 v66, v70, 2, v61
	ds_read_b32 v61, v1 offset:30588
	ds_read_b32 v62, v66
	v_cndmask_b32_e32 v68, 0, v57, vcc
	v_add_u32_e32 v70, v69, v70
	v_cndmask_b32_e64 v64, v63, v71, s[22:23]
	v_cndmask_b32_e64 v68, v68, v69, s[22:23]
	s_waitcnt lgkmcnt(0)
	v_cmp_lt_f32_e64 s[24:25], v62, v67
	v_mov_b32_e32 v63, v70
	s_and_saveexec_b64 s[26:27], s[24:25]
; %bb.36:                               ;   in Loop: Header=BB97_16 Depth=1
	v_cndmask_b32_e64 v63, v11, 1.0, vcc
	v_cndmask_b32_e64 v68, v71, v63, s[22:23]
	v_cndmask_b32_e32 v63, v57, v60, vcc
	v_cndmask_b32_e64 v63, v69, v63, s[22:23]
	v_mov_b32_e32 v72, 16
	v_mov_b32_e32 v64, v62
	v_mov_b32_e32 v62, v68
	v_mov_b32_e32 v68, v70
; %bb.37:                               ;   in Loop: Header=BB97_16 Depth=1
	s_or_b64 exec, exec, s[26:27]
	v_lshl_add_u32 v66, v72, 2, v66
	ds_read_b32 v74, v66
	v_add_u32_e32 v73, v72, v70
	v_mov_b32_e32 v72, -4
	s_waitcnt lgkmcnt(0)
	v_cmp_lt_f32_e32 vcc, v74, v67
	v_cndmask_b32_e64 v70, -8, 8, vcc
	v_lshl_add_u32 v69, v70, 2, v66
	ds_read_b32 v66, v69
	v_add_u32_e32 v71, v70, v73
	v_cndmask_b32_e32 v64, v64, v74, vcc
	v_cndmask_b32_e32 v68, v68, v73, vcc
	v_mov_b32_e32 v70, v71
	s_waitcnt lgkmcnt(0)
	v_cmp_lt_f32_e64 s[22:23], v66, v67
	s_and_saveexec_b64 s[24:25], s[22:23]
; %bb.38:                               ;   in Loop: Header=BB97_16 Depth=1
	v_cndmask_b32_e32 v62, v74, v62, vcc
	v_cndmask_b32_e32 v70, v73, v63, vcc
	v_mov_b32_e32 v72, 4
	v_mov_b32_e32 v64, v66
	;; [unrolled: 1-line block ×4, first 2 shown]
; %bb.39:                               ;   in Loop: Header=BB97_16 Depth=1
	s_or_b64 exec, exec, s[24:25]
	v_lshl_add_u32 v62, v72, 2, v69
	ds_read_b32 v74, v62
	v_add_u32_e32 v73, v72, v71
	v_mov_b32_e32 v63, -1
	s_waitcnt lgkmcnt(0)
	v_cmp_lt_f32_e32 vcc, v74, v67
	v_cndmask_b32_e64 v75, -2, 2, vcc
	v_lshl_add_u32 v72, v75, 2, v62
	ds_read_b32 v69, v72
	v_add_u32_e32 v62, v75, v73
	v_cndmask_b32_e32 v71, v64, v74, vcc
	v_cndmask_b32_e32 v64, v68, v73, vcc
	v_mov_b32_e32 v68, v62
	s_waitcnt lgkmcnt(0)
	v_cmp_lt_f32_e64 s[22:23], v69, v67
	s_and_saveexec_b64 s[24:25], s[22:23]
; %bb.40:                               ;   in Loop: Header=BB97_16 Depth=1
	v_cndmask_b32_e32 v64, v74, v66, vcc
	v_cndmask_b32_e32 v68, v73, v70, vcc
	v_mov_b32_e32 v63, 1
	v_mov_b32_e32 v71, v69
	;; [unrolled: 1-line block ×4, first 2 shown]
; %bb.41:                               ;   in Loop: Header=BB97_16 Depth=1
	s_or_b64 exec, exec, s[24:25]
	v_lshl_add_u32 v66, v63, 2, v72
	ds_read_b32 v70, v66
                                        ; implicit-def: $vgpr66
	s_waitcnt lgkmcnt(0)
	v_cmp_nlt_f32_e32 vcc, v70, v67
	s_and_saveexec_b64 s[22:23], vcc
	s_xor_b64 s[22:23], exec, s[22:23]
	s_cbranch_execz .LBB97_43
; %bb.42:                               ;   in Loop: Header=BB97_16 Depth=1
	v_cmp_eq_u32_e32 vcc, 0, v64
	v_cndmask_b32_e32 v66, v71, v10, vcc
	v_sub_f32_e32 v67, v66, v67
	v_and_b32_e32 v68, 0x7fffffff, v67
	v_sub_f32_e32 v66, v70, v66
	v_div_scale_f32 v69, s[24:25], v66, v66, v68
	v_rcp_f32_e32 v70, v69
	v_div_scale_f32 v68, vcc, v68, v66, v68
	v_fma_f32 v71, -v69, v70, 1.0
	v_fmac_f32_e32 v70, v71, v70
	v_mul_f32_e32 v71, v68, v70
	v_fma_f32 v72, -v69, v71, v68
	v_fmac_f32_e32 v71, v72, v70
	v_fma_f32 v68, -v69, v71, v68
	v_div_fmas_f32 v68, v68, v70, v71
	v_div_fixup_f32 v66, v68, v66, |v67|
                                        ; implicit-def: $vgpr68
                                        ; implicit-def: $vgpr69
                                        ; implicit-def: $vgpr67
                                        ; implicit-def: $vgpr70
.LBB97_43:                              ;   in Loop: Header=BB97_16 Depth=1
	s_andn2_saveexec_b64 s[22:23], s[22:23]
	s_cbranch_execz .LBB97_45
; %bb.44:                               ;   in Loop: Header=BB97_16 Depth=1
	v_cmp_eq_u32_e32 vcc, s44, v68
	v_cndmask_b32_e32 v64, v69, v61, vcc
	v_sub_f32_e32 v66, v64, v67
	v_and_b32_e32 v67, 0x7fffffff, v66
	v_sub_f32_e32 v64, v64, v70
	v_div_scale_f32 v69, s[24:25], v64, v64, v67
	v_rcp_f32_e32 v70, v69
	v_div_scale_f32 v67, vcc, v67, v64, v67
	v_fma_f32 v71, -v69, v70, 1.0
	v_fmac_f32_e32 v70, v71, v70
	v_mul_f32_e32 v71, v67, v70
	v_fma_f32 v72, -v69, v71, v67
	v_fmac_f32_e32 v71, v72, v70
	v_fma_f32 v67, -v69, v71, v67
	v_div_fmas_f32 v67, v67, v70, v71
	v_div_fixup_f32 v66, v67, v64, |v66|
	v_mov_b32_e32 v64, v68
.LBB97_45:                              ;   in Loop: Header=BB97_16 Depth=1
	s_or_b64 exec, exec, s[22:23]
	v_cvt_f32_f16_sdwa v8, v8 dst_sel:DWORD dst_unused:UNUSED_PAD src0_sel:WORD_1
	v_mov_b32_e32 v71, -16
	v_mul_f32_e32 v70, v65, v8
	v_cmp_lt_f32_e32 vcc, v11, v70
	v_cndmask_b32_e32 v69, 63, v58, vcc
	v_lshlrev_b32_e32 v8, 2, v69
	ds_read_b32 v75, v8 offset:29568
	v_add_u32_e32 v8, 0x7380, v8
	v_cndmask_b32_e32 v67, -1.0, v11, vcc
	v_cndmask_b32_e32 v73, 0, v57, vcc
	s_waitcnt lgkmcnt(0)
	v_cmp_lt_f32_e64 s[22:23], v75, v70
	v_cndmask_b32_e64 v74, v59, 32, s[22:23]
	v_lshl_add_u32 v72, v74, 2, v8
	ds_read_b32 v8, v72
	v_add_u32_e32 v74, v69, v74
	v_cndmask_b32_e64 v68, v67, v75, s[22:23]
	v_cndmask_b32_e64 v73, v73, v69, s[22:23]
	v_mov_b32_e32 v67, v74
	s_waitcnt lgkmcnt(0)
	v_cmp_lt_f32_e64 s[24:25], v8, v70
	s_and_saveexec_b64 s[26:27], s[24:25]
; %bb.46:                               ;   in Loop: Header=BB97_16 Depth=1
	v_cndmask_b32_e64 v67, v11, 1.0, vcc
	v_cndmask_b32_e64 v73, v75, v67, s[22:23]
	v_cndmask_b32_e32 v67, v57, v60, vcc
	v_cndmask_b32_e64 v67, v69, v67, s[22:23]
	v_mov_b32_e32 v71, 16
	v_mov_b32_e32 v68, v8
	;; [unrolled: 1-line block ×4, first 2 shown]
; %bb.47:                               ;   in Loop: Header=BB97_16 Depth=1
	s_or_b64 exec, exec, s[26:27]
	v_lshl_add_u32 v69, v71, 2, v72
	ds_read_b32 v77, v69
	v_add_u32_e32 v76, v71, v74
	v_mov_b32_e32 v75, -4
	s_waitcnt lgkmcnt(0)
	v_cmp_lt_f32_e32 vcc, v77, v70
	v_cndmask_b32_e64 v74, -8, 8, vcc
	v_lshl_add_u32 v72, v74, 2, v69
	ds_read_b32 v69, v72
	v_add_u32_e32 v74, v74, v76
	v_cndmask_b32_e32 v68, v68, v77, vcc
	v_cndmask_b32_e32 v71, v73, v76, vcc
	v_mov_b32_e32 v73, v74
	s_waitcnt lgkmcnt(0)
	v_cmp_lt_f32_e64 s[22:23], v69, v70
	s_and_saveexec_b64 s[24:25], s[22:23]
; %bb.48:                               ;   in Loop: Header=BB97_16 Depth=1
	v_cndmask_b32_e32 v8, v77, v8, vcc
	v_cndmask_b32_e32 v73, v76, v67, vcc
	v_mov_b32_e32 v75, 4
	v_mov_b32_e32 v68, v69
	;; [unrolled: 1-line block ×4, first 2 shown]
; %bb.49:                               ;   in Loop: Header=BB97_16 Depth=1
	s_or_b64 exec, exec, s[24:25]
	v_lshl_add_u32 v8, v75, 2, v72
	ds_read_b32 v77, v8
	v_add_u32_e32 v76, v75, v74
	v_mov_b32_e32 v67, -1
	s_waitcnt lgkmcnt(0)
	v_cmp_lt_f32_e32 vcc, v77, v70
	v_cndmask_b32_e64 v78, -2, 2, vcc
	v_lshl_add_u32 v75, v78, 2, v8
	ds_read_b32 v72, v75
	v_add_u32_e32 v8, v78, v76
	v_cndmask_b32_e32 v74, v68, v77, vcc
	v_cndmask_b32_e32 v68, v71, v76, vcc
	v_mov_b32_e32 v71, v8
	s_waitcnt lgkmcnt(0)
	v_cmp_lt_f32_e64 s[22:23], v72, v70
	s_and_saveexec_b64 s[24:25], s[22:23]
; %bb.50:                               ;   in Loop: Header=BB97_16 Depth=1
	v_cndmask_b32_e32 v68, v77, v69, vcc
	v_cndmask_b32_e32 v71, v76, v73, vcc
	v_mov_b32_e32 v67, 1
	v_mov_b32_e32 v74, v72
	;; [unrolled: 1-line block ×4, first 2 shown]
; %bb.51:                               ;   in Loop: Header=BB97_16 Depth=1
	s_or_b64 exec, exec, s[24:25]
	v_lshl_add_u32 v69, v67, 2, v75
	ds_read_b32 v73, v69
                                        ; implicit-def: $vgpr69
	s_waitcnt lgkmcnt(0)
	v_cmp_nlt_f32_e32 vcc, v73, v70
	s_and_saveexec_b64 s[22:23], vcc
	s_xor_b64 s[22:23], exec, s[22:23]
	s_cbranch_execz .LBB97_53
; %bb.52:                               ;   in Loop: Header=BB97_16 Depth=1
	v_cmp_eq_u32_e32 vcc, 0, v68
	v_cndmask_b32_e32 v69, v74, v10, vcc
	v_sub_f32_e32 v70, v69, v70
	v_and_b32_e32 v71, 0x7fffffff, v70
	v_sub_f32_e32 v69, v73, v69
	v_div_scale_f32 v72, s[24:25], v69, v69, v71
	v_rcp_f32_e32 v73, v72
	v_div_scale_f32 v71, vcc, v71, v69, v71
	v_fma_f32 v74, -v72, v73, 1.0
	v_fmac_f32_e32 v73, v74, v73
	v_mul_f32_e32 v74, v71, v73
	v_fma_f32 v75, -v72, v74, v71
	v_fmac_f32_e32 v74, v75, v73
	v_fma_f32 v71, -v72, v74, v71
	v_div_fmas_f32 v71, v71, v73, v74
	v_div_fixup_f32 v69, v71, v69, |v70|
                                        ; implicit-def: $vgpr71
                                        ; implicit-def: $vgpr72
                                        ; implicit-def: $vgpr70
                                        ; implicit-def: $vgpr73
.LBB97_53:                              ;   in Loop: Header=BB97_16 Depth=1
	s_andn2_saveexec_b64 s[22:23], s[22:23]
	s_cbranch_execz .LBB97_55
; %bb.54:                               ;   in Loop: Header=BB97_16 Depth=1
	v_cmp_eq_u32_e32 vcc, s44, v71
	v_cndmask_b32_e32 v68, v72, v61, vcc
	v_sub_f32_e32 v69, v68, v70
	v_and_b32_e32 v70, 0x7fffffff, v69
	v_sub_f32_e32 v68, v68, v73
	v_div_scale_f32 v72, s[24:25], v68, v68, v70
	v_rcp_f32_e32 v73, v72
	v_div_scale_f32 v70, vcc, v70, v68, v70
	v_fma_f32 v74, -v72, v73, 1.0
	v_fmac_f32_e32 v73, v74, v73
	v_mul_f32_e32 v74, v70, v73
	v_fma_f32 v75, -v72, v74, v70
	v_fmac_f32_e32 v74, v75, v73
	v_fma_f32 v70, -v72, v74, v70
	v_div_fmas_f32 v70, v70, v73, v74
	v_div_fixup_f32 v69, v70, v68, |v69|
	v_mov_b32_e32 v68, v71
.LBB97_55:                              ;   in Loop: Header=BB97_16 Depth=1
	s_or_b64 exec, exec, s[22:23]
	v_cvt_f32_f16_e32 v70, v9
	v_mov_b32_e32 v75, -16
	v_mul_f32_e32 v74, v65, v70
	v_cmp_lt_f32_e32 vcc, v11, v74
	v_cndmask_b32_e32 v73, 63, v58, vcc
	v_lshlrev_b32_e32 v70, 2, v73
	ds_read_b32 v79, v70 offset:29568
	v_add_u32_e32 v70, 0x7380, v70
	v_cndmask_b32_e32 v71, -1.0, v11, vcc
	v_cndmask_b32_e32 v77, 0, v57, vcc
	s_waitcnt lgkmcnt(0)
	v_cmp_lt_f32_e64 s[22:23], v79, v74
	v_cndmask_b32_e64 v78, v59, 32, s[22:23]
	v_lshl_add_u32 v76, v78, 2, v70
	ds_read_b32 v70, v76
	v_add_u32_e32 v78, v73, v78
	v_cndmask_b32_e64 v72, v71, v79, s[22:23]
	v_cndmask_b32_e64 v77, v77, v73, s[22:23]
	v_mov_b32_e32 v71, v78
	s_waitcnt lgkmcnt(0)
	v_cmp_lt_f32_e64 s[24:25], v70, v74
	s_and_saveexec_b64 s[26:27], s[24:25]
; %bb.56:                               ;   in Loop: Header=BB97_16 Depth=1
	v_cndmask_b32_e64 v71, v11, 1.0, vcc
	v_cndmask_b32_e64 v77, v79, v71, s[22:23]
	v_cndmask_b32_e32 v71, v57, v60, vcc
	v_cndmask_b32_e64 v71, v73, v71, s[22:23]
	v_mov_b32_e32 v75, 16
	v_mov_b32_e32 v72, v70
	;; [unrolled: 1-line block ×4, first 2 shown]
; %bb.57:                               ;   in Loop: Header=BB97_16 Depth=1
	s_or_b64 exec, exec, s[26:27]
	v_lshl_add_u32 v73, v75, 2, v76
	ds_read_b32 v81, v73
	v_add_u32_e32 v80, v75, v78
	v_mov_b32_e32 v79, -4
	s_waitcnt lgkmcnt(0)
	v_cmp_lt_f32_e32 vcc, v81, v74
	v_cndmask_b32_e64 v78, -8, 8, vcc
	v_lshl_add_u32 v76, v78, 2, v73
	ds_read_b32 v73, v76
	v_add_u32_e32 v78, v78, v80
	v_cndmask_b32_e32 v72, v72, v81, vcc
	v_cndmask_b32_e32 v75, v77, v80, vcc
	v_mov_b32_e32 v77, v78
	s_waitcnt lgkmcnt(0)
	v_cmp_lt_f32_e64 s[22:23], v73, v74
	s_and_saveexec_b64 s[24:25], s[22:23]
; %bb.58:                               ;   in Loop: Header=BB97_16 Depth=1
	v_cndmask_b32_e32 v70, v81, v70, vcc
	v_cndmask_b32_e32 v77, v80, v71, vcc
	v_mov_b32_e32 v79, 4
	v_mov_b32_e32 v72, v73
	;; [unrolled: 1-line block ×4, first 2 shown]
; %bb.59:                               ;   in Loop: Header=BB97_16 Depth=1
	s_or_b64 exec, exec, s[24:25]
	v_lshl_add_u32 v70, v79, 2, v76
	ds_read_b32 v81, v70
	v_add_u32_e32 v80, v79, v78
	v_mov_b32_e32 v71, -1
	s_waitcnt lgkmcnt(0)
	v_cmp_lt_f32_e32 vcc, v81, v74
	v_cndmask_b32_e64 v82, -2, 2, vcc
	v_lshl_add_u32 v79, v82, 2, v70
	ds_read_b32 v76, v79
	v_add_u32_e32 v70, v82, v80
	v_cndmask_b32_e32 v78, v72, v81, vcc
	v_cndmask_b32_e32 v72, v75, v80, vcc
	v_mov_b32_e32 v75, v70
	s_waitcnt lgkmcnt(0)
	v_cmp_lt_f32_e64 s[22:23], v76, v74
	s_and_saveexec_b64 s[24:25], s[22:23]
; %bb.60:                               ;   in Loop: Header=BB97_16 Depth=1
	v_cndmask_b32_e32 v72, v81, v73, vcc
	v_cndmask_b32_e32 v75, v80, v77, vcc
	v_mov_b32_e32 v71, 1
	v_mov_b32_e32 v78, v76
	;; [unrolled: 1-line block ×4, first 2 shown]
; %bb.61:                               ;   in Loop: Header=BB97_16 Depth=1
	s_or_b64 exec, exec, s[24:25]
	v_lshl_add_u32 v73, v71, 2, v79
	ds_read_b32 v77, v73
                                        ; implicit-def: $vgpr73
	s_waitcnt lgkmcnt(0)
	v_cmp_nlt_f32_e32 vcc, v77, v74
	s_and_saveexec_b64 s[22:23], vcc
	s_xor_b64 s[22:23], exec, s[22:23]
	s_cbranch_execz .LBB97_63
; %bb.62:                               ;   in Loop: Header=BB97_16 Depth=1
	v_cmp_eq_u32_e32 vcc, 0, v72
	v_cndmask_b32_e32 v73, v78, v10, vcc
	v_sub_f32_e32 v74, v73, v74
	v_and_b32_e32 v75, 0x7fffffff, v74
	v_sub_f32_e32 v73, v77, v73
	v_div_scale_f32 v76, s[24:25], v73, v73, v75
	v_rcp_f32_e32 v77, v76
	v_div_scale_f32 v75, vcc, v75, v73, v75
	v_fma_f32 v78, -v76, v77, 1.0
	v_fmac_f32_e32 v77, v78, v77
	v_mul_f32_e32 v78, v75, v77
	v_fma_f32 v79, -v76, v78, v75
	v_fmac_f32_e32 v78, v79, v77
	v_fma_f32 v75, -v76, v78, v75
	v_div_fmas_f32 v75, v75, v77, v78
	v_div_fixup_f32 v73, v75, v73, |v74|
                                        ; implicit-def: $vgpr75
                                        ; implicit-def: $vgpr76
                                        ; implicit-def: $vgpr74
                                        ; implicit-def: $vgpr77
.LBB97_63:                              ;   in Loop: Header=BB97_16 Depth=1
	s_andn2_saveexec_b64 s[22:23], s[22:23]
	s_cbranch_execz .LBB97_65
; %bb.64:                               ;   in Loop: Header=BB97_16 Depth=1
	v_cmp_eq_u32_e32 vcc, s44, v75
	v_cndmask_b32_e32 v72, v76, v61, vcc
	v_sub_f32_e32 v73, v72, v74
	v_and_b32_e32 v74, 0x7fffffff, v73
	v_sub_f32_e32 v72, v72, v77
	v_div_scale_f32 v76, s[24:25], v72, v72, v74
	v_rcp_f32_e32 v77, v76
	v_div_scale_f32 v74, vcc, v74, v72, v74
	v_fma_f32 v78, -v76, v77, 1.0
	v_fmac_f32_e32 v77, v78, v77
	v_mul_f32_e32 v78, v74, v77
	v_fma_f32 v79, -v76, v78, v74
	v_fmac_f32_e32 v78, v79, v77
	v_fma_f32 v74, -v76, v78, v74
	v_div_fmas_f32 v74, v74, v77, v78
	v_div_fixup_f32 v73, v74, v72, |v73|
	v_mov_b32_e32 v72, v75
.LBB97_65:                              ;   in Loop: Header=BB97_16 Depth=1
	s_or_b64 exec, exec, s[22:23]
	v_cvt_f32_f16_sdwa v9, v9 dst_sel:DWORD dst_unused:UNUSED_PAD src0_sel:WORD_1
	v_mov_b32_e32 v77, -16
	v_mul_f32_e32 v9, v65, v9
	v_cmp_lt_f32_e32 vcc, v11, v9
	v_cndmask_b32_e32 v76, 63, v58, vcc
	v_lshlrev_b32_e32 v65, 2, v76
	ds_read_b32 v81, v65 offset:29568
	v_add_u32_e32 v65, 0x7380, v65
	v_cndmask_b32_e32 v74, -1.0, v11, vcc
	v_cndmask_b32_e32 v79, 0, v57, vcc
	s_waitcnt lgkmcnt(0)
	v_cmp_lt_f32_e64 s[22:23], v81, v9
	v_cndmask_b32_e64 v80, v59, 32, s[22:23]
	v_lshl_add_u32 v78, v80, 2, v65
	ds_read_b32 v65, v78
	v_add_u32_e32 v80, v76, v80
	v_cndmask_b32_e64 v75, v74, v81, s[22:23]
	v_cndmask_b32_e64 v79, v79, v76, s[22:23]
	v_mov_b32_e32 v74, v80
	s_waitcnt lgkmcnt(0)
	v_cmp_lt_f32_e64 s[24:25], v65, v9
	s_and_saveexec_b64 s[26:27], s[24:25]
; %bb.66:                               ;   in Loop: Header=BB97_16 Depth=1
	v_cndmask_b32_e64 v11, v11, 1.0, vcc
	v_cndmask_b32_e64 v11, v81, v11, s[22:23]
	v_cndmask_b32_e32 v74, v57, v60, vcc
	v_cndmask_b32_e64 v74, v76, v74, s[22:23]
	v_mov_b32_e32 v77, 16
	v_mov_b32_e32 v75, v65
	;; [unrolled: 1-line block ×4, first 2 shown]
; %bb.67:                               ;   in Loop: Header=BB97_16 Depth=1
	s_or_b64 exec, exec, s[26:27]
	v_lshl_add_u32 v11, v77, 2, v78
	ds_read_b32 v82, v11
	v_add_u32_e32 v81, v77, v80
	v_mov_b32_e32 v80, -4
	s_waitcnt lgkmcnt(0)
	v_cmp_lt_f32_e32 vcc, v82, v9
	v_cndmask_b32_e64 v78, -8, 8, vcc
	v_lshl_add_u32 v76, v78, 2, v11
	ds_read_b32 v77, v76
	v_cndmask_b32_e32 v11, v75, v82, vcc
	v_cndmask_b32_e32 v75, v79, v81, vcc
	v_add_u32_e32 v79, v78, v81
	v_mov_b32_e32 v78, v79
	s_waitcnt lgkmcnt(0)
	v_cmp_lt_f32_e64 s[22:23], v77, v9
	s_and_saveexec_b64 s[24:25], s[22:23]
; %bb.68:                               ;   in Loop: Header=BB97_16 Depth=1
	v_cndmask_b32_e32 v65, v82, v65, vcc
	v_cndmask_b32_e32 v78, v81, v74, vcc
	v_mov_b32_e32 v80, 4
	v_mov_b32_e32 v11, v77
	;; [unrolled: 1-line block ×4, first 2 shown]
; %bb.69:                               ;   in Loop: Header=BB97_16 Depth=1
	s_or_b64 exec, exec, s[24:25]
	v_lshl_add_u32 v65, v80, 2, v76
	ds_read_b32 v82, v65
	v_add_u32_e32 v81, v80, v79
	s_waitcnt lgkmcnt(0)
	v_cmp_lt_f32_e32 vcc, v82, v9
	v_cndmask_b32_e64 v83, -2, 2, vcc
	v_lshl_add_u32 v80, v83, 2, v65
	ds_read_b32 v76, v80
	v_cndmask_b32_e32 v79, v11, v82, vcc
	v_add_u32_e32 v11, v83, v81
	v_mov_b32_e32 v65, -1
	v_cndmask_b32_e32 v74, v75, v81, vcc
	s_waitcnt lgkmcnt(0)
	v_cmp_lt_f32_e64 s[22:23], v76, v9
	v_mov_b32_e32 v75, v11
	s_and_saveexec_b64 s[24:25], s[22:23]
; %bb.70:                               ;   in Loop: Header=BB97_16 Depth=1
	v_cndmask_b32_e32 v74, v82, v77, vcc
	v_cndmask_b32_e32 v75, v81, v78, vcc
	v_mov_b32_e32 v65, 1
	v_mov_b32_e32 v79, v76
	;; [unrolled: 1-line block ×4, first 2 shown]
; %bb.71:                               ;   in Loop: Header=BB97_16 Depth=1
	s_or_b64 exec, exec, s[24:25]
	v_lshl_add_u32 v77, v65, 2, v80
	ds_read_b32 v78, v77
                                        ; implicit-def: $vgpr77
	s_waitcnt lgkmcnt(0)
	v_cmp_nlt_f32_e32 vcc, v78, v9
	s_and_saveexec_b64 s[22:23], vcc
	s_xor_b64 s[22:23], exec, s[22:23]
	s_cbranch_execz .LBB97_73
; %bb.72:                               ;   in Loop: Header=BB97_16 Depth=1
	v_cmp_eq_u32_e32 vcc, 0, v74
	v_cndmask_b32_e32 v10, v79, v10, vcc
	v_sub_f32_e32 v9, v10, v9
	v_and_b32_e32 v61, 0x7fffffff, v9
	v_sub_f32_e32 v10, v78, v10
	v_div_scale_f32 v75, s[24:25], v10, v10, v61
	v_rcp_f32_e32 v76, v75
	v_div_scale_f32 v61, vcc, v61, v10, v61
	v_fma_f32 v77, -v75, v76, 1.0
	v_fmac_f32_e32 v76, v77, v76
	v_mul_f32_e32 v77, v61, v76
	v_fma_f32 v78, -v75, v77, v61
	v_fmac_f32_e32 v77, v78, v76
	v_fma_f32 v61, -v75, v77, v61
	v_div_fmas_f32 v61, v61, v76, v77
	v_div_fixup_f32 v77, v61, v10, |v9|
                                        ; implicit-def: $vgpr75
                                        ; implicit-def: $vgpr76
                                        ; implicit-def: $vgpr61
                                        ; implicit-def: $vgpr9
                                        ; implicit-def: $vgpr78
.LBB97_73:                              ;   in Loop: Header=BB97_16 Depth=1
	s_andn2_saveexec_b64 s[22:23], s[22:23]
	s_cbranch_execz .LBB97_75
; %bb.74:                               ;   in Loop: Header=BB97_16 Depth=1
	v_cmp_eq_u32_e32 vcc, s44, v75
	v_cndmask_b32_e32 v10, v76, v61, vcc
	v_sub_f32_e32 v9, v10, v9
	v_and_b32_e32 v61, 0x7fffffff, v9
	v_sub_f32_e32 v10, v10, v78
	v_div_scale_f32 v74, s[24:25], v10, v10, v61
	v_rcp_f32_e32 v76, v74
	v_div_scale_f32 v61, vcc, v61, v10, v61
	v_fma_f32 v77, -v74, v76, 1.0
	v_fmac_f32_e32 v76, v77, v76
	v_mul_f32_e32 v77, v61, v76
	v_fma_f32 v78, -v74, v77, v61
	v_fmac_f32_e32 v77, v78, v76
	v_fma_f32 v61, -v74, v77, v61
	v_div_fmas_f32 v61, v61, v76, v77
	v_div_fixup_f32 v77, v61, v10, |v9|
	v_mov_b32_e32 v74, v75
.LBB97_75:                              ;   in Loop: Header=BB97_16 Depth=1
	s_or_b64 exec, exec, s[22:23]
	v_add_u32_e32 v10, v71, v70
	v_cmp_nle_f32_e32 vcc, v73, v2
	v_cndmask_b32_e32 v2, v72, v10, vcc
	v_add_u32_e32 v8, v67, v8
	v_cmp_nle_f32_e32 vcc, v69, v5
	v_cndmask_b32_e32 v5, v68, v8, vcc
	v_add_u32_e32 v8, v63, v62
	v_cmp_nle_f32_e32 vcc, v66, v4
	v_add_u32_e32 v9, v65, v11
	v_cndmask_b32_e32 v4, v64, v8, vcc
	v_cmp_nle_f32_e32 vcc, v77, v3
	v_cndmask_b32_e32 v3, v74, v9, vcc
	s_barrier
	ds_write_b8 v50, v4 offset:25344
	ds_write_b8 v50, v5 offset:25345
	;; [unrolled: 1-line block ×4, first 2 shown]
	; wave barrier
	ds_read_u8 v8, v52 offset:25344
	ds_read_u8 v5, v53 offset:25344
	;; [unrolled: 1-line block ×3, first 2 shown]
	v_mov_b32_e32 v3, s35
	v_add_co_u32_e32 v2, vcc, s34, v55
	v_addc_co_u32_e32 v3, vcc, v56, v3, vcc
	s_and_saveexec_b64 s[22:23], s[14:15]
	s_xor_b64 s[14:15], exec, s[22:23]
	s_cbranch_execnz .LBB97_82
; %bb.76:                               ;   in Loop: Header=BB97_16 Depth=1
	s_or_b64 exec, exec, s[14:15]
	s_and_saveexec_b64 s[14:15], s[16:17]
	s_cbranch_execnz .LBB97_83
.LBB97_77:                              ;   in Loop: Header=BB97_16 Depth=1
	s_or_b64 exec, exec, s[14:15]
	s_and_saveexec_b64 s[14:15], s[18:19]
	s_cbranch_execnz .LBB97_84
.LBB97_78:                              ;   in Loop: Header=BB97_16 Depth=1
	s_or_b64 exec, exec, s[14:15]
	s_and_saveexec_b64 s[14:15], s[20:21]
	s_cbranch_execz .LBB97_15
	s_branch .LBB97_85
.LBB97_79:                              ;   in Loop: Header=BB97_16 Depth=1
	global_load_dword v10, v[6:7], off
	v_mov_b32_e32 v2, v1
	v_mov_b32_e32 v3, v1
	v_pk_mov_b32 v[4:5], v[2:3], v[2:3] op_sel:[0,1]
	v_pk_mov_b32 v[2:3], v[0:1], v[0:1] op_sel:[0,1]
	s_or_b64 exec, exec, s[22:23]
	s_and_saveexec_b64 s[22:23], s[8:9]
	s_cbranch_execz .LBB97_32
.LBB97_80:                              ;   in Loop: Header=BB97_16 Depth=1
	global_load_dword v3, v[6:7], off offset:256
	s_or_b64 exec, exec, s[22:23]
	s_and_saveexec_b64 s[22:23], s[10:11]
	s_cbranch_execz .LBB97_33
.LBB97_81:                              ;   in Loop: Header=BB97_16 Depth=1
	global_load_dword v4, v[6:7], off offset:512
	s_or_b64 exec, exec, s[22:23]
	s_and_saveexec_b64 s[22:23], s[12:13]
	s_cbranch_execnz .LBB97_34
	s_branch .LBB97_35
.LBB97_82:                              ;   in Loop: Header=BB97_16 Depth=1
	ds_read_u8 v9, v51 offset:25344
	s_waitcnt lgkmcnt(0)
	global_store_byte v[2:3], v9, off
	s_or_b64 exec, exec, s[14:15]
	s_and_saveexec_b64 s[14:15], s[16:17]
	s_cbranch_execz .LBB97_77
.LBB97_83:                              ;   in Loop: Header=BB97_16 Depth=1
	s_waitcnt lgkmcnt(2)
	global_store_byte v[2:3], v8, off offset:64
	s_or_b64 exec, exec, s[14:15]
	s_and_saveexec_b64 s[14:15], s[18:19]
	s_cbranch_execz .LBB97_78
.LBB97_84:                              ;   in Loop: Header=BB97_16 Depth=1
	s_waitcnt lgkmcnt(1)
	global_store_byte v[2:3], v5, off offset:128
	s_or_b64 exec, exec, s[14:15]
	s_and_saveexec_b64 s[14:15], s[20:21]
	s_cbranch_execz .LBB97_15
.LBB97_85:                              ;   in Loop: Header=BB97_16 Depth=1
	s_waitcnt lgkmcnt(0)
	global_store_byte v[2:3], v4, off offset:192
	s_branch .LBB97_15
.LBB97_86:
	s_endpgm
	.section	.rodata,"a",@progbits
	.p2align	6, 0x0
	.amdhsa_kernel _Z18kQuantizeBlockwiseI6__halfLi4096ELi4ELi1ELi0EEvPfPT_S1_PhS1_ii
		.amdhsa_group_segment_fixed_size 30660
		.amdhsa_private_segment_fixed_size 0
		.amdhsa_kernarg_size 304
		.amdhsa_user_sgpr_count 6
		.amdhsa_user_sgpr_private_segment_buffer 1
		.amdhsa_user_sgpr_dispatch_ptr 0
		.amdhsa_user_sgpr_queue_ptr 0
		.amdhsa_user_sgpr_kernarg_segment_ptr 1
		.amdhsa_user_sgpr_dispatch_id 0
		.amdhsa_user_sgpr_flat_scratch_init 0
		.amdhsa_user_sgpr_kernarg_preload_length 0
		.amdhsa_user_sgpr_kernarg_preload_offset 0
		.amdhsa_user_sgpr_private_segment_size 0
		.amdhsa_uses_dynamic_stack 0
		.amdhsa_system_sgpr_private_segment_wavefront_offset 0
		.amdhsa_system_sgpr_workgroup_id_x 1
		.amdhsa_system_sgpr_workgroup_id_y 0
		.amdhsa_system_sgpr_workgroup_id_z 0
		.amdhsa_system_sgpr_workgroup_info 0
		.amdhsa_system_vgpr_workitem_id 0
		.amdhsa_next_free_vgpr 84
		.amdhsa_next_free_sgpr 46
		.amdhsa_accum_offset 84
		.amdhsa_reserve_vcc 1
		.amdhsa_reserve_flat_scratch 0
		.amdhsa_float_round_mode_32 0
		.amdhsa_float_round_mode_16_64 0
		.amdhsa_float_denorm_mode_32 3
		.amdhsa_float_denorm_mode_16_64 3
		.amdhsa_dx10_clamp 1
		.amdhsa_ieee_mode 1
		.amdhsa_fp16_overflow 0
		.amdhsa_tg_split 0
		.amdhsa_exception_fp_ieee_invalid_op 0
		.amdhsa_exception_fp_denorm_src 0
		.amdhsa_exception_fp_ieee_div_zero 0
		.amdhsa_exception_fp_ieee_overflow 0
		.amdhsa_exception_fp_ieee_underflow 0
		.amdhsa_exception_fp_ieee_inexact 0
		.amdhsa_exception_int_div_zero 0
	.end_amdhsa_kernel
	.section	.text._Z18kQuantizeBlockwiseI6__halfLi4096ELi4ELi1ELi0EEvPfPT_S1_PhS1_ii,"axG",@progbits,_Z18kQuantizeBlockwiseI6__halfLi4096ELi4ELi1ELi0EEvPfPT_S1_PhS1_ii,comdat
.Lfunc_end97:
	.size	_Z18kQuantizeBlockwiseI6__halfLi4096ELi4ELi1ELi0EEvPfPT_S1_PhS1_ii, .Lfunc_end97-_Z18kQuantizeBlockwiseI6__halfLi4096ELi4ELi1ELi0EEvPfPT_S1_PhS1_ii
                                        ; -- End function
	.section	.AMDGPU.csdata,"",@progbits
; Kernel info:
; codeLenInByte = 5900
; NumSgprs: 50
; NumVgprs: 84
; NumAgprs: 0
; TotalNumVgprs: 84
; ScratchSize: 0
; MemoryBound: 0
; FloatMode: 240
; IeeeMode: 1
; LDSByteSize: 30660 bytes/workgroup (compile time only)
; SGPRBlocks: 6
; VGPRBlocks: 10
; NumSGPRsForWavesPerEU: 50
; NumVGPRsForWavesPerEU: 84
; AccumOffset: 84
; Occupancy: 5
; WaveLimiterHint : 0
; COMPUTE_PGM_RSRC2:SCRATCH_EN: 0
; COMPUTE_PGM_RSRC2:USER_SGPR: 6
; COMPUTE_PGM_RSRC2:TRAP_HANDLER: 0
; COMPUTE_PGM_RSRC2:TGID_X_EN: 1
; COMPUTE_PGM_RSRC2:TGID_Y_EN: 0
; COMPUTE_PGM_RSRC2:TGID_Z_EN: 0
; COMPUTE_PGM_RSRC2:TIDIG_COMP_CNT: 0
; COMPUTE_PGM_RSRC3_GFX90A:ACCUM_OFFSET: 20
; COMPUTE_PGM_RSRC3_GFX90A:TG_SPLIT: 0
	.section	.text._Z18kQuantizeBlockwiseI6__halfLi2048ELi4ELi0ELi0EEvPfPT_S1_PhS1_ii,"axG",@progbits,_Z18kQuantizeBlockwiseI6__halfLi2048ELi4ELi0ELi0EEvPfPT_S1_PhS1_ii,comdat
